;; amdgpu-corpus repo=ROCm/rocFFT kind=compiled arch=gfx1201 opt=O3
	.text
	.amdgcn_target "amdgcn-amd-amdhsa--gfx1201"
	.amdhsa_code_object_version 6
	.protected	fft_rtc_fwd_len810_factors_3_10_3_3_3_wgs_81_tpt_81_halfLds_dp_op_CI_CI_unitstride_sbrr_dirReg ; -- Begin function fft_rtc_fwd_len810_factors_3_10_3_3_3_wgs_81_tpt_81_halfLds_dp_op_CI_CI_unitstride_sbrr_dirReg
	.globl	fft_rtc_fwd_len810_factors_3_10_3_3_3_wgs_81_tpt_81_halfLds_dp_op_CI_CI_unitstride_sbrr_dirReg
	.p2align	8
	.type	fft_rtc_fwd_len810_factors_3_10_3_3_3_wgs_81_tpt_81_halfLds_dp_op_CI_CI_unitstride_sbrr_dirReg,@function
fft_rtc_fwd_len810_factors_3_10_3_3_3_wgs_81_tpt_81_halfLds_dp_op_CI_CI_unitstride_sbrr_dirReg: ; @fft_rtc_fwd_len810_factors_3_10_3_3_3_wgs_81_tpt_81_halfLds_dp_op_CI_CI_unitstride_sbrr_dirReg
; %bb.0:
	s_clause 0x2
	s_load_b128 s[4:7], s[0:1], 0x0
	s_load_b128 s[8:11], s[0:1], 0x58
	;; [unrolled: 1-line block ×3, first 2 shown]
	v_mul_u32_u24_e32 v1, 0x32a, v0
	v_mov_b32_e32 v4, 0
	v_mov_b32_e32 v5, 0
	s_delay_alu instid0(VALU_DEP_3) | instskip(NEXT) | instid1(VALU_DEP_1)
	v_lshrrev_b32_e32 v2, 16, v1
	v_dual_mov_b32 v1, 0 :: v_dual_add_nc_u32 v6, ttmp9, v2
	s_delay_alu instid0(VALU_DEP_1) | instskip(SKIP_2) | instid1(VALU_DEP_1)
	v_mov_b32_e32 v7, v1
	s_wait_kmcnt 0x0
	v_cmp_lt_u64_e64 s2, s[6:7], 2
	s_and_b32 vcc_lo, exec_lo, s2
	s_cbranch_vccnz .LBB0_8
; %bb.1:
	s_load_b64 s[2:3], s[0:1], 0x10
	v_mov_b32_e32 v4, 0
	v_mov_b32_e32 v5, 0
	s_add_nc_u64 s[16:17], s[14:15], 8
	s_add_nc_u64 s[18:19], s[12:13], 8
	s_mov_b64 s[20:21], 1
	s_delay_alu instid0(VALU_DEP_1)
	v_dual_mov_b32 v51, v5 :: v_dual_mov_b32 v50, v4
	s_wait_kmcnt 0x0
	s_add_nc_u64 s[22:23], s[2:3], 8
	s_mov_b32 s3, 0
.LBB0_2:                                ; =>This Inner Loop Header: Depth=1
	s_load_b64 s[24:25], s[22:23], 0x0
                                        ; implicit-def: $vgpr52_vgpr53
	s_mov_b32 s2, exec_lo
	s_wait_kmcnt 0x0
	v_or_b32_e32 v2, s25, v7
	s_delay_alu instid0(VALU_DEP_1)
	v_cmpx_ne_u64_e32 0, v[1:2]
	s_wait_alu 0xfffe
	s_xor_b32 s26, exec_lo, s2
	s_cbranch_execz .LBB0_4
; %bb.3:                                ;   in Loop: Header=BB0_2 Depth=1
	s_cvt_f32_u32 s2, s24
	s_cvt_f32_u32 s27, s25
	s_sub_nc_u64 s[30:31], 0, s[24:25]
	s_wait_alu 0xfffe
	s_delay_alu instid0(SALU_CYCLE_1) | instskip(SKIP_1) | instid1(SALU_CYCLE_2)
	s_fmamk_f32 s2, s27, 0x4f800000, s2
	s_wait_alu 0xfffe
	v_s_rcp_f32 s2, s2
	s_delay_alu instid0(TRANS32_DEP_1) | instskip(SKIP_1) | instid1(SALU_CYCLE_2)
	s_mul_f32 s2, s2, 0x5f7ffffc
	s_wait_alu 0xfffe
	s_mul_f32 s27, s2, 0x2f800000
	s_wait_alu 0xfffe
	s_delay_alu instid0(SALU_CYCLE_2) | instskip(SKIP_1) | instid1(SALU_CYCLE_2)
	s_trunc_f32 s27, s27
	s_wait_alu 0xfffe
	s_fmamk_f32 s2, s27, 0xcf800000, s2
	s_cvt_u32_f32 s29, s27
	s_wait_alu 0xfffe
	s_delay_alu instid0(SALU_CYCLE_1) | instskip(SKIP_1) | instid1(SALU_CYCLE_2)
	s_cvt_u32_f32 s28, s2
	s_wait_alu 0xfffe
	s_mul_u64 s[34:35], s[30:31], s[28:29]
	s_wait_alu 0xfffe
	s_mul_hi_u32 s37, s28, s35
	s_mul_i32 s36, s28, s35
	s_mul_hi_u32 s2, s28, s34
	s_mul_i32 s33, s29, s34
	s_wait_alu 0xfffe
	s_add_nc_u64 s[36:37], s[2:3], s[36:37]
	s_mul_hi_u32 s27, s29, s34
	s_mul_hi_u32 s38, s29, s35
	s_add_co_u32 s2, s36, s33
	s_wait_alu 0xfffe
	s_add_co_ci_u32 s2, s37, s27
	s_mul_i32 s34, s29, s35
	s_add_co_ci_u32 s35, s38, 0
	s_wait_alu 0xfffe
	s_add_nc_u64 s[34:35], s[2:3], s[34:35]
	s_wait_alu 0xfffe
	v_add_co_u32 v2, s2, s28, s34
	s_delay_alu instid0(VALU_DEP_1) | instskip(SKIP_1) | instid1(VALU_DEP_1)
	s_cmp_lg_u32 s2, 0
	s_add_co_ci_u32 s29, s29, s35
	v_readfirstlane_b32 s28, v2
	s_wait_alu 0xfffe
	s_delay_alu instid0(VALU_DEP_1)
	s_mul_u64 s[30:31], s[30:31], s[28:29]
	s_wait_alu 0xfffe
	s_mul_hi_u32 s35, s28, s31
	s_mul_i32 s34, s28, s31
	s_mul_hi_u32 s2, s28, s30
	s_mul_i32 s33, s29, s30
	s_wait_alu 0xfffe
	s_add_nc_u64 s[34:35], s[2:3], s[34:35]
	s_mul_hi_u32 s27, s29, s30
	s_mul_hi_u32 s28, s29, s31
	s_wait_alu 0xfffe
	s_add_co_u32 s2, s34, s33
	s_add_co_ci_u32 s2, s35, s27
	s_mul_i32 s30, s29, s31
	s_add_co_ci_u32 s31, s28, 0
	s_wait_alu 0xfffe
	s_add_nc_u64 s[30:31], s[2:3], s[30:31]
	s_wait_alu 0xfffe
	v_add_co_u32 v8, s2, v2, s30
	s_delay_alu instid0(VALU_DEP_1) | instskip(SKIP_1) | instid1(VALU_DEP_1)
	s_cmp_lg_u32 s2, 0
	s_add_co_ci_u32 s2, s29, s31
	v_mul_hi_u32 v12, v6, v8
	s_wait_alu 0xfffe
	v_mad_co_u64_u32 v[2:3], null, v6, s2, 0
	v_mad_co_u64_u32 v[8:9], null, v7, v8, 0
	;; [unrolled: 1-line block ×3, first 2 shown]
	s_delay_alu instid0(VALU_DEP_3) | instskip(SKIP_1) | instid1(VALU_DEP_4)
	v_add_co_u32 v2, vcc_lo, v12, v2
	s_wait_alu 0xfffd
	v_add_co_ci_u32_e32 v3, vcc_lo, 0, v3, vcc_lo
	s_delay_alu instid0(VALU_DEP_2) | instskip(SKIP_1) | instid1(VALU_DEP_2)
	v_add_co_u32 v2, vcc_lo, v2, v8
	s_wait_alu 0xfffd
	v_add_co_ci_u32_e32 v2, vcc_lo, v3, v9, vcc_lo
	s_wait_alu 0xfffd
	v_add_co_ci_u32_e32 v3, vcc_lo, 0, v11, vcc_lo
	s_delay_alu instid0(VALU_DEP_2) | instskip(SKIP_1) | instid1(VALU_DEP_2)
	v_add_co_u32 v8, vcc_lo, v2, v10
	s_wait_alu 0xfffd
	v_add_co_ci_u32_e32 v9, vcc_lo, 0, v3, vcc_lo
	s_delay_alu instid0(VALU_DEP_2) | instskip(SKIP_1) | instid1(VALU_DEP_3)
	v_mul_lo_u32 v10, s25, v8
	v_mad_co_u64_u32 v[2:3], null, s24, v8, 0
	v_mul_lo_u32 v11, s24, v9
	s_delay_alu instid0(VALU_DEP_2) | instskip(NEXT) | instid1(VALU_DEP_2)
	v_sub_co_u32 v2, vcc_lo, v6, v2
	v_add3_u32 v3, v3, v11, v10
	s_delay_alu instid0(VALU_DEP_1) | instskip(SKIP_1) | instid1(VALU_DEP_1)
	v_sub_nc_u32_e32 v10, v7, v3
	s_wait_alu 0xfffd
	v_subrev_co_ci_u32_e64 v10, s2, s25, v10, vcc_lo
	v_add_co_u32 v11, s2, v8, 2
	s_wait_alu 0xf1ff
	v_add_co_ci_u32_e64 v12, s2, 0, v9, s2
	v_sub_co_u32 v13, s2, v2, s24
	v_sub_co_ci_u32_e32 v3, vcc_lo, v7, v3, vcc_lo
	s_wait_alu 0xf1ff
	v_subrev_co_ci_u32_e64 v10, s2, 0, v10, s2
	s_delay_alu instid0(VALU_DEP_3) | instskip(NEXT) | instid1(VALU_DEP_3)
	v_cmp_le_u32_e32 vcc_lo, s24, v13
	v_cmp_eq_u32_e64 s2, s25, v3
	s_wait_alu 0xfffd
	v_cndmask_b32_e64 v13, 0, -1, vcc_lo
	v_cmp_le_u32_e32 vcc_lo, s25, v10
	s_wait_alu 0xfffd
	v_cndmask_b32_e64 v14, 0, -1, vcc_lo
	v_cmp_le_u32_e32 vcc_lo, s24, v2
	;; [unrolled: 3-line block ×3, first 2 shown]
	s_wait_alu 0xfffd
	v_cndmask_b32_e64 v15, 0, -1, vcc_lo
	v_cmp_eq_u32_e32 vcc_lo, s25, v10
	s_wait_alu 0xf1ff
	s_delay_alu instid0(VALU_DEP_2)
	v_cndmask_b32_e64 v2, v15, v2, s2
	s_wait_alu 0xfffd
	v_cndmask_b32_e32 v10, v14, v13, vcc_lo
	v_add_co_u32 v13, vcc_lo, v8, 1
	s_wait_alu 0xfffd
	v_add_co_ci_u32_e32 v14, vcc_lo, 0, v9, vcc_lo
	s_delay_alu instid0(VALU_DEP_3) | instskip(SKIP_1) | instid1(VALU_DEP_2)
	v_cmp_ne_u32_e32 vcc_lo, 0, v10
	s_wait_alu 0xfffd
	v_dual_cndmask_b32 v3, v14, v12 :: v_dual_cndmask_b32 v10, v13, v11
	v_cmp_ne_u32_e32 vcc_lo, 0, v2
	s_wait_alu 0xfffd
	s_delay_alu instid0(VALU_DEP_2)
	v_dual_cndmask_b32 v53, v9, v3 :: v_dual_cndmask_b32 v52, v8, v10
.LBB0_4:                                ;   in Loop: Header=BB0_2 Depth=1
	s_wait_alu 0xfffe
	s_and_not1_saveexec_b32 s2, s26
	s_cbranch_execz .LBB0_6
; %bb.5:                                ;   in Loop: Header=BB0_2 Depth=1
	v_cvt_f32_u32_e32 v2, s24
	s_sub_co_i32 s26, 0, s24
	v_mov_b32_e32 v53, v1
	s_delay_alu instid0(VALU_DEP_2) | instskip(NEXT) | instid1(TRANS32_DEP_1)
	v_rcp_iflag_f32_e32 v2, v2
	v_mul_f32_e32 v2, 0x4f7ffffe, v2
	s_delay_alu instid0(VALU_DEP_1) | instskip(SKIP_1) | instid1(VALU_DEP_1)
	v_cvt_u32_f32_e32 v2, v2
	s_wait_alu 0xfffe
	v_mul_lo_u32 v3, s26, v2
	s_delay_alu instid0(VALU_DEP_1) | instskip(NEXT) | instid1(VALU_DEP_1)
	v_mul_hi_u32 v3, v2, v3
	v_add_nc_u32_e32 v2, v2, v3
	s_delay_alu instid0(VALU_DEP_1) | instskip(NEXT) | instid1(VALU_DEP_1)
	v_mul_hi_u32 v2, v6, v2
	v_mul_lo_u32 v3, v2, s24
	v_add_nc_u32_e32 v8, 1, v2
	s_delay_alu instid0(VALU_DEP_2) | instskip(NEXT) | instid1(VALU_DEP_1)
	v_sub_nc_u32_e32 v3, v6, v3
	v_subrev_nc_u32_e32 v9, s24, v3
	v_cmp_le_u32_e32 vcc_lo, s24, v3
	s_wait_alu 0xfffd
	s_delay_alu instid0(VALU_DEP_2) | instskip(NEXT) | instid1(VALU_DEP_1)
	v_dual_cndmask_b32 v3, v3, v9 :: v_dual_cndmask_b32 v2, v2, v8
	v_cmp_le_u32_e32 vcc_lo, s24, v3
	s_delay_alu instid0(VALU_DEP_2) | instskip(SKIP_1) | instid1(VALU_DEP_1)
	v_add_nc_u32_e32 v8, 1, v2
	s_wait_alu 0xfffd
	v_cndmask_b32_e32 v52, v2, v8, vcc_lo
.LBB0_6:                                ;   in Loop: Header=BB0_2 Depth=1
	s_wait_alu 0xfffe
	s_or_b32 exec_lo, exec_lo, s2
	v_mul_lo_u32 v8, v53, s24
	s_delay_alu instid0(VALU_DEP_2)
	v_mul_lo_u32 v9, v52, s25
	s_load_b64 s[26:27], s[18:19], 0x0
	v_mad_co_u64_u32 v[2:3], null, v52, s24, 0
	s_load_b64 s[24:25], s[16:17], 0x0
	s_add_nc_u64 s[20:21], s[20:21], 1
	s_add_nc_u64 s[16:17], s[16:17], 8
	s_wait_alu 0xfffe
	v_cmp_ge_u64_e64 s2, s[20:21], s[6:7]
	s_add_nc_u64 s[18:19], s[18:19], 8
	s_add_nc_u64 s[22:23], s[22:23], 8
	v_add3_u32 v3, v3, v9, v8
	v_sub_co_u32 v2, vcc_lo, v6, v2
	s_wait_alu 0xfffd
	s_delay_alu instid0(VALU_DEP_2) | instskip(SKIP_2) | instid1(VALU_DEP_1)
	v_sub_co_ci_u32_e32 v3, vcc_lo, v7, v3, vcc_lo
	s_and_b32 vcc_lo, exec_lo, s2
	s_wait_kmcnt 0x0
	v_mul_lo_u32 v6, s26, v3
	v_mul_lo_u32 v7, s27, v2
	v_mad_co_u64_u32 v[4:5], null, s26, v2, v[4:5]
	v_mul_lo_u32 v3, s24, v3
	v_mul_lo_u32 v8, s25, v2
	v_mad_co_u64_u32 v[50:51], null, s24, v2, v[50:51]
	s_delay_alu instid0(VALU_DEP_4) | instskip(NEXT) | instid1(VALU_DEP_2)
	v_add3_u32 v5, v7, v5, v6
	v_add3_u32 v51, v8, v51, v3
	s_wait_alu 0xfffe
	s_cbranch_vccnz .LBB0_9
; %bb.7:                                ;   in Loop: Header=BB0_2 Depth=1
	v_dual_mov_b32 v6, v52 :: v_dual_mov_b32 v7, v53
	s_branch .LBB0_2
.LBB0_8:
	v_dual_mov_b32 v51, v5 :: v_dual_mov_b32 v50, v4
	v_dual_mov_b32 v53, v7 :: v_dual_mov_b32 v52, v6
.LBB0_9:
	s_load_b64 s[2:3], s[0:1], 0x28
	v_mul_hi_u32 v1, 0x3291620, v0
	s_lshl_b64 s[6:7], s[6:7], 3
                                        ; implicit-def: $vgpr76
	s_wait_kmcnt 0x0
	v_cmp_gt_u64_e64 s0, s[2:3], v[52:53]
	v_cmp_le_u64_e32 vcc_lo, s[2:3], v[52:53]
	s_wait_alu 0xfffe
	s_add_nc_u64 s[2:3], s[14:15], s[6:7]
	s_and_saveexec_b32 s1, vcc_lo
	s_wait_alu 0xfffe
	s_xor_b32 s1, exec_lo, s1
; %bb.10:
	v_mul_u32_u24_e32 v1, 0x51, v1
                                        ; implicit-def: $vgpr4_vgpr5
	s_delay_alu instid0(VALU_DEP_1)
	v_sub_nc_u32_e32 v76, v0, v1
                                        ; implicit-def: $vgpr1
                                        ; implicit-def: $vgpr0
; %bb.11:
	s_wait_alu 0xfffe
	s_or_saveexec_b32 s1, s1
	s_load_b64 s[2:3], s[2:3], 0x0
                                        ; implicit-def: $vgpr28_vgpr29
                                        ; implicit-def: $vgpr24_vgpr25
                                        ; implicit-def: $vgpr20_vgpr21
                                        ; implicit-def: $vgpr36_vgpr37
                                        ; implicit-def: $vgpr44_vgpr45
                                        ; implicit-def: $vgpr32_vgpr33
                                        ; implicit-def: $vgpr14_vgpr15
                                        ; implicit-def: $vgpr40_vgpr41
                                        ; implicit-def: $vgpr10_vgpr11
                                        ; implicit-def: $vgpr6_vgpr7
                                        ; implicit-def: $vgpr48_vgpr49
                                        ; implicit-def: $vgpr2_vgpr3
	s_xor_b32 exec_lo, exec_lo, s1
	s_cbranch_execz .LBB0_15
; %bb.12:
	s_add_nc_u64 s[6:7], s[12:13], s[6:7]
                                        ; implicit-def: $vgpr18_vgpr19
                                        ; implicit-def: $vgpr22_vgpr23
                                        ; implicit-def: $vgpr26_vgpr27
	s_load_b64 s[6:7], s[6:7], 0x0
	s_wait_kmcnt 0x0
	v_mul_lo_u32 v6, s7, v52
	v_mul_lo_u32 v7, s6, v53
	v_mad_co_u64_u32 v[2:3], null, s6, v52, 0
	s_mov_b32 s6, exec_lo
	s_delay_alu instid0(VALU_DEP_1) | instskip(SKIP_1) | instid1(VALU_DEP_2)
	v_add3_u32 v3, v3, v7, v6
	v_mul_u32_u24_e32 v6, 0x51, v1
	v_lshlrev_b64_e32 v[1:2], 4, v[2:3]
	v_lshlrev_b64_e32 v[3:4], 4, v[4:5]
	s_delay_alu instid0(VALU_DEP_3) | instskip(NEXT) | instid1(VALU_DEP_3)
	v_sub_nc_u32_e32 v76, v0, v6
	v_add_co_u32 v0, vcc_lo, s8, v1
	s_wait_alu 0xfffd
	s_delay_alu instid0(VALU_DEP_4) | instskip(NEXT) | instid1(VALU_DEP_3)
	v_add_co_ci_u32_e32 v1, vcc_lo, s9, v2, vcc_lo
	v_lshlrev_b32_e32 v2, 4, v76
	s_delay_alu instid0(VALU_DEP_3) | instskip(SKIP_1) | instid1(VALU_DEP_3)
	v_add_co_u32 v0, vcc_lo, v0, v3
	s_wait_alu 0xfffd
	v_add_co_ci_u32_e32 v1, vcc_lo, v1, v4, vcc_lo
	s_delay_alu instid0(VALU_DEP_2) | instskip(SKIP_1) | instid1(VALU_DEP_2)
	v_add_co_u32 v16, vcc_lo, v0, v2
	s_wait_alu 0xfffd
	v_add_co_ci_u32_e32 v17, vcc_lo, 0, v1, vcc_lo
	s_clause 0x8
	global_load_b128 v[0:3], v[16:17], off
	global_load_b128 v[8:11], v[16:17], off offset:1296
	global_load_b128 v[4:7], v[16:17], off offset:8640
	;; [unrolled: 1-line block ×8, first 2 shown]
	v_cmpx_gt_u32_e32 27, v76
; %bb.13:
	s_clause 0x2
	global_load_b128 v[18:21], v[16:17], off offset:3888
	global_load_b128 v[22:25], v[16:17], off offset:8208
	;; [unrolled: 1-line block ×3, first 2 shown]
; %bb.14:
	s_wait_alu 0xfffe
	s_or_b32 exec_lo, exec_lo, s6
.LBB0_15:
	s_delay_alu instid0(SALU_CYCLE_1)
	s_or_b32 exec_lo, exec_lo, s1
	s_wait_loadcnt 0x4
	v_add_f64_e32 v[16:17], v[4:5], v[46:47]
	s_wait_loadcnt 0x2
	v_add_f64_e32 v[54:55], v[12:13], v[38:39]
	;; [unrolled: 2-line block ×3, first 2 shown]
	v_add_f64_e32 v[58:59], v[26:27], v[22:23]
	v_add_f64_e32 v[60:61], v[46:47], v[0:1]
	v_add_f64_e64 v[62:63], v[48:49], -v[6:7]
	v_add_f64_e32 v[64:65], v[38:39], v[8:9]
	v_add_f64_e32 v[66:67], v[42:43], v[30:31]
	s_mov_b32 s6, 0xe8584caa
	s_mov_b32 s7, 0x3febb67a
	;; [unrolled: 1-line block ×3, first 2 shown]
	s_wait_alu 0xfffe
	s_mov_b32 s8, s6
	v_cmp_gt_u32_e32 vcc_lo, 27, v76
	v_fma_f64 v[0:1], v[16:17], -0.5, v[0:1]
	v_add_f64_e64 v[16:17], v[40:41], -v[14:15]
	v_fma_f64 v[8:9], v[54:55], -0.5, v[8:9]
	v_add_f64_e64 v[54:55], v[44:45], -v[36:37]
	;; [unrolled: 2-line block ×3, first 2 shown]
	v_fma_f64 v[58:59], v[58:59], -0.5, v[18:19]
	v_add_f64_e32 v[60:61], v[4:5], v[60:61]
	v_add_f64_e32 v[64:65], v[12:13], v[64:65]
	;; [unrolled: 1-line block ×3, first 2 shown]
	v_fma_f64 v[68:69], v[62:63], s[6:7], v[0:1]
	s_wait_alu 0xfffe
	v_fma_f64 v[0:1], v[62:63], s[8:9], v[0:1]
	v_fma_f64 v[62:63], v[16:17], s[6:7], v[8:9]
	;; [unrolled: 1-line block ×7, first 2 shown]
	v_mad_u32_u24 v30, v76, 24, 0
	s_delay_alu instid0(VALU_DEP_1)
	v_add_nc_u32_e32 v58, 0xf30, v30
	v_add_nc_u32_e32 v31, 0x16c8, v30
	ds_store_2addr_b64 v30, v[60:61], v[68:69] offset1:1
	ds_store_2addr_b64 v30, v[64:65], v[62:63] offset0:243 offset1:244
	ds_store_2addr_b64 v30, v[0:1], v[8:9] offset0:2 offset1:245
	ds_store_2addr_b64 v58, v[66:67], v[16:17] offset1:1
	ds_store_b64 v30, v[70:71] offset:3904
	s_and_saveexec_b32 s1, vcc_lo
	s_cbranch_execz .LBB0_17
; %bb.16:
	v_add_f64_e32 v[0:1], v[22:23], v[18:19]
	s_delay_alu instid0(VALU_DEP_1)
	v_add_f64_e32 v[0:1], v[26:27], v[0:1]
	ds_store_2addr_b64 v31, v[0:1], v[54:55] offset1:1
	ds_store_b64 v30, v[56:57] offset:5848
.LBB0_17:
	s_wait_alu 0xfffe
	s_or_b32 exec_lo, exec_lo, s1
	v_add_f64_e32 v[0:1], v[6:7], v[48:49]
	v_add_f64_e32 v[16:17], v[36:37], v[44:45]
	;; [unrolled: 1-line block ×5, first 2 shown]
	v_add_f64_e64 v[4:5], v[46:47], -v[4:5]
	v_add_f64_e32 v[40:41], v[40:41], v[10:11]
	v_add_f64_e32 v[44:45], v[44:45], v[32:33]
	global_wb scope:SCOPE_SE
	s_wait_dscnt 0x0
	s_wait_kmcnt 0x0
	s_barrier_signal -1
	s_barrier_wait -1
	global_inv scope:SCOPE_SE
	v_fma_f64 v[0:1], v[0:1], -0.5, v[2:3]
	v_add_f64_e64 v[2:3], v[38:39], -v[12:13]
	v_fma_f64 v[12:13], v[16:17], -0.5, v[32:33]
	v_add_f64_e64 v[16:17], v[22:23], -v[26:27]
	v_fma_f64 v[18:19], v[18:19], -0.5, v[20:21]
	v_fma_f64 v[8:9], v[8:9], -0.5, v[10:11]
	v_add_f64_e64 v[10:11], v[42:43], -v[34:35]
	v_add_f64_e32 v[26:27], v[6:7], v[48:49]
	v_add_f64_e32 v[32:33], v[14:15], v[40:41]
	;; [unrolled: 1-line block ×3, first 2 shown]
	v_fma_f64 v[40:41], v[4:5], s[8:9], v[0:1]
	v_fma_f64 v[44:45], v[4:5], s[6:7], v[0:1]
	v_lshlrev_b32_e32 v0, 4, v76
	v_fma_f64 v[36:37], v[16:17], s[8:9], v[18:19]
	v_fma_f64 v[34:35], v[16:17], s[6:7], v[18:19]
	;; [unrolled: 1-line block ×6, first 2 shown]
	v_sub_nc_u32_e32 v77, v30, v0
	s_delay_alu instid0(VALU_DEP_1)
	v_add_nc_u32_e32 v42, 0x800, v77
	v_add_nc_u32_e32 v22, 0xc00, v77
	;; [unrolled: 1-line block ×3, first 2 shown]
	ds_load_2addr_b64 v[0:3], v77 offset1:81
	ds_load_2addr_b64 v[4:7], v77 offset0:162 offset1:243
	ds_load_2addr_b64 v[8:11], v42 offset0:68 offset1:149
	;; [unrolled: 1-line block ×4, first 2 shown]
	global_wb scope:SCOPE_SE
	s_wait_dscnt 0x0
	s_barrier_signal -1
	s_barrier_wait -1
	global_inv scope:SCOPE_SE
	ds_store_2addr_b64 v30, v[26:27], v[40:41] offset1:1
	ds_store_2addr_b64 v30, v[32:33], v[46:47] offset0:243 offset1:244
	ds_store_2addr_b64 v30, v[44:45], v[48:49] offset0:2 offset1:245
	ds_store_2addr_b64 v58, v[38:39], v[59:60] offset1:1
	ds_store_b64 v30, v[61:62] offset:3904
	s_and_saveexec_b32 s1, vcc_lo
	s_cbranch_execz .LBB0_19
; %bb.18:
	v_add_f64_e32 v[20:21], v[24:25], v[20:21]
	s_delay_alu instid0(VALU_DEP_1)
	v_add_f64_e32 v[20:21], v[28:29], v[20:21]
	ds_store_2addr_b64 v31, v[20:21], v[36:37] offset1:1
	ds_store_b64 v30, v[34:35] offset:5848
.LBB0_19:
	s_wait_alu 0xfffe
	s_or_b32 exec_lo, exec_lo, s1
	v_and_b32_e32 v79, 0xff, v76
	global_wb scope:SCOPE_SE
	s_wait_dscnt 0x0
	s_barrier_signal -1
	s_barrier_wait -1
	global_inv scope:SCOPE_SE
	v_mul_lo_u16 v20, 0xab, v79
	s_mov_b32 s8, 0x134454ff
	s_mov_b32 s9, 0x3fee6f0e
	;; [unrolled: 1-line block ×3, first 2 shown]
	s_wait_alu 0xfffe
	s_mov_b32 s6, s8
	v_lshrrev_b16 v24, 9, v20
	s_mov_b32 s14, 0x4755a5e
	s_mov_b32 s15, 0x3fe2cf23
	;; [unrolled: 1-line block ×4, first 2 shown]
	v_mul_lo_u16 v20, v24, 3
	s_mov_b32 s16, 0x372fe950
	s_mov_b32 s17, 0x3fd3c6ef
	;; [unrolled: 1-line block ×4, first 2 shown]
	v_sub_nc_u16 v20, v76, v20
	v_add_nc_u32_e32 v78, 0x400, v77
	s_delay_alu instid0(VALU_DEP_2) | instskip(NEXT) | instid1(VALU_DEP_1)
	v_and_b32_e32 v25, 0xff, v20
	v_mul_u32_u24_e32 v20, 9, v25
	s_delay_alu instid0(VALU_DEP_1)
	v_lshlrev_b32_e32 v20, 4, v20
	s_clause 0x8
	global_load_b128 v[26:29], v20, s[4:5] offset:32
	global_load_b128 v[38:41], v20, s[4:5] offset:64
	;; [unrolled: 1-line block ×4, first 2 shown]
	global_load_b128 v[62:65], v20, s[4:5]
	global_load_b128 v[66:69], v20, s[4:5] offset:16
	global_load_b128 v[70:73], v20, s[4:5] offset:48
	global_load_b128 v[80:83], v20, s[4:5] offset:80
	global_load_b128 v[84:87], v20, s[4:5] offset:112
	ds_load_2addr_b64 v[88:91], v77 offset0:162 offset1:243
	ds_load_2addr_b64 v[92:95], v42 offset0:68 offset1:149
	;; [unrolled: 1-line block ×4, first 2 shown]
	ds_load_2addr_b64 v[20:23], v77 offset1:81
	global_wb scope:SCOPE_SE
	s_wait_loadcnt_dscnt 0x0
	s_barrier_signal -1
	s_barrier_wait -1
	global_inv scope:SCOPE_SE
	v_mul_f64_e32 v[30:31], v[90:91], v[28:29]
	v_mul_f64_e32 v[28:29], v[6:7], v[28:29]
	;; [unrolled: 1-line block ×10, first 2 shown]
	v_fma_f64 v[106:107], v[6:7], v[26:27], -v[30:31]
	v_fma_f64 v[30:31], v[90:91], v[26:27], v[28:29]
	v_fma_f64 v[10:11], v[10:11], v[38:39], -v[32:33]
	v_fma_f64 v[28:29], v[94:95], v[38:39], v[40:41]
	v_fma_f64 v[26:27], v[102:103], v[44:45], v[48:49]
	;; [unrolled: 1-line block ×3, first 2 shown]
	v_fma_f64 v[18:19], v[18:19], v[58:59], -v[60:61]
	v_fma_f64 v[14:15], v[14:15], v[44:45], -v[46:47]
	v_mul_f64_e32 v[32:33], v[88:89], v[68:69]
	v_mul_f64_e32 v[40:41], v[92:93], v[72:73]
	;; [unrolled: 1-line block ×4, first 2 shown]
	v_fma_f64 v[74:75], v[2:3], v[62:63], -v[104:105]
	v_fma_f64 v[2:3], v[22:23], v[62:63], v[64:65]
	v_mul_f64_e32 v[62:63], v[4:5], v[68:69]
	v_mul_f64_e32 v[64:65], v[8:9], v[72:73]
	;; [unrolled: 1-line block ×4, first 2 shown]
	v_add_f64_e32 v[22:23], v[28:29], v[26:27]
	v_add_f64_e32 v[48:49], v[30:31], v[6:7]
	;; [unrolled: 1-line block ×4, first 2 shown]
	v_fma_f64 v[38:39], v[4:5], v[66:67], -v[32:33]
	v_fma_f64 v[4:5], v[8:9], v[70:71], -v[40:41]
	;; [unrolled: 1-line block ×4, first 2 shown]
	v_add_f64_e64 v[16:17], v[106:107], -v[18:19]
	v_add_f64_e64 v[12:13], v[28:29], -v[26:27]
	;; [unrolled: 1-line block ×4, first 2 shown]
	v_fma_f64 v[46:47], v[96:97], v[84:85], v[72:73]
	v_add_f64_e64 v[72:73], v[14:15], -v[18:19]
	v_add_f64_e64 v[84:85], v[6:7], -v[26:27]
	v_fma_f64 v[22:23], v[22:23], -0.5, v[2:3]
	v_fma_f64 v[82:83], v[48:49], -0.5, v[2:3]
	;; [unrolled: 1-line block ×4, first 2 shown]
	v_fma_f64 v[58:59], v[88:89], v[66:67], v[62:63]
	v_fma_f64 v[60:61], v[92:93], v[70:71], v[64:65]
	;; [unrolled: 1-line block ×3, first 2 shown]
	v_add_f64_e32 v[62:63], v[4:5], v[32:33]
	v_add_f64_e32 v[64:65], v[38:39], v[44:45]
	v_add_f64_e64 v[66:67], v[106:107], -v[10:11]
	v_add_f64_e64 v[68:69], v[18:19], -v[14:15]
	v_add_f64_e64 v[70:71], v[10:11], -v[106:107]
	v_add_f64_e64 v[80:81], v[30:31], -v[28:29]
	v_add_f64_e64 v[88:89], v[28:29], -v[30:31]
	v_add_f64_e64 v[92:93], v[26:27], -v[6:7]
	v_add_f64_e32 v[102:103], v[0:1], v[38:39]
	v_add_f64_e32 v[74:75], v[74:75], v[106:107]
	s_wait_alu 0xfffe
	v_fma_f64 v[94:95], v[16:17], s[6:7], v[22:23]
	v_fma_f64 v[96:97], v[40:41], s[8:9], v[82:83]
	;; [unrolled: 1-line block ×4, first 2 shown]
	v_add_f64_e64 v[104:105], v[58:59], -v[46:47]
	v_fma_f64 v[22:23], v[16:17], s[8:9], v[22:23]
	v_add_f64_e64 v[106:107], v[60:61], -v[48:49]
	v_fma_f64 v[62:63], v[62:63], -0.5, v[0:1]
	v_fma_f64 v[0:1], v[64:65], -0.5, v[0:1]
	v_fma_f64 v[64:65], v[8:9], s[8:9], v[90:91]
	v_add_f64_e32 v[68:69], v[66:67], v[68:69]
	v_add_f64_e32 v[70:71], v[70:71], v[72:73]
	;; [unrolled: 1-line block ×3, first 2 shown]
	v_fma_f64 v[66:67], v[12:13], s[6:7], v[86:87]
	v_fma_f64 v[72:73], v[40:41], s[6:7], v[82:83]
	v_add_f64_e32 v[84:85], v[88:89], v[92:93]
	v_add_f64_e64 v[92:93], v[38:39], -v[4:5]
	v_add_f64_e32 v[10:11], v[74:75], v[10:11]
	v_fma_f64 v[82:83], v[40:41], s[12:13], v[94:95]
	v_fma_f64 v[86:87], v[16:17], s[12:13], v[96:97]
	;; [unrolled: 1-line block ×4, first 2 shown]
	v_add_f64_e64 v[94:95], v[44:45], -v[32:33]
	v_add_f64_e32 v[100:101], v[102:103], v[4:5]
	v_add_f64_e64 v[96:97], v[4:5], -v[38:39]
	v_fma_f64 v[74:75], v[104:105], s[8:9], v[62:63]
	v_add_f64_e64 v[98:99], v[32:33], -v[44:45]
	v_fma_f64 v[12:13], v[12:13], s[14:15], v[64:65]
	v_fma_f64 v[102:103], v[104:105], s[6:7], v[62:63]
	;; [unrolled: 1-line block ×7, first 2 shown]
	v_add_f64_e32 v[10:11], v[10:11], v[14:15]
	v_fma_f64 v[64:65], v[80:81], s[16:17], v[82:83]
	v_fma_f64 v[66:67], v[84:85], s[16:17], v[86:87]
	;; [unrolled: 1-line block ×4, first 2 shown]
	v_add_f64_e32 v[40:41], v[92:93], v[94:95]
	v_add_f64_e32 v[86:87], v[100:101], v[32:33]
	v_fma_f64 v[14:15], v[106:107], s[14:15], v[74:75]
	v_add_f64_e32 v[82:83], v[96:97], v[98:99]
	v_fma_f64 v[74:75], v[68:69], s[16:17], v[12:13]
	v_fma_f64 v[88:89], v[106:107], s[12:13], v[102:103]
	;; [unrolled: 1-line block ×7, first 2 shown]
	v_add_f64_e32 v[10:11], v[10:11], v[18:19]
	v_mul_f64_e32 v[8:9], s[14:15], v[64:65]
	v_mul_f64_e32 v[12:13], s[8:9], v[66:67]
	;; [unrolled: 1-line block ×4, first 2 shown]
	v_add_f64_e32 v[80:81], v[86:87], v[44:45]
	v_fma_f64 v[14:15], v[40:41], s[16:17], v[14:15]
	v_fma_f64 v[18:19], v[40:41], s[16:17], v[88:89]
	;; [unrolled: 1-line block ×6, first 2 shown]
	v_fma_f64 v[16:17], v[70:71], s[8:9], -v[16:17]
	v_fma_f64 v[22:23], v[68:69], s[14:15], -v[22:23]
	v_add_f64_e32 v[84:85], v[80:81], v[10:11]
	v_add_f64_e64 v[10:11], v[80:81], -v[10:11]
	v_add_f64_e32 v[86:87], v[14:15], v[8:9]
	v_add_f64_e32 v[88:89], v[40:41], v[12:13]
	;; [unrolled: 1-line block ×4, first 2 shown]
	v_add_f64_e64 v[8:9], v[14:15], -v[8:9]
	v_add_f64_e64 v[12:13], v[40:41], -v[12:13]
	v_add_f64_e64 v[14:15], v[82:83], -v[16:17]
	v_add_f64_e64 v[40:41], v[18:19], -v[22:23]
	v_and_b32_e32 v16, 0xffff, v24
	v_lshlrev_b32_e32 v17, 3, v25
	s_delay_alu instid0(VALU_DEP_2) | instskip(NEXT) | instid1(VALU_DEP_1)
	v_mul_u32_u24_e32 v16, 0xf0, v16
	v_add3_u32 v80, 0, v16, v17
	ds_store_2addr_b64 v80, v[84:85], v[86:87] offset1:3
	ds_store_2addr_b64 v80, v[88:89], v[90:91] offset0:6 offset1:9
	ds_store_2addr_b64 v80, v[92:93], v[10:11] offset0:12 offset1:15
	;; [unrolled: 1-line block ×4, first 2 shown]
	global_wb scope:SCOPE_SE
	s_wait_dscnt 0x0
	s_barrier_signal -1
	s_barrier_wait -1
	global_inv scope:SCOPE_SE
	ds_load_2addr_b64 v[12:15], v77 offset1:81
	ds_load_2addr_b64 v[8:11], v78 offset0:34 offset1:142
	ds_load_2addr_b64 v[22:25], v43 offset0:28 offset1:109
	;; [unrolled: 1-line block ×3, first 2 shown]
	ds_load_b64 v[42:43], v77 offset:5616
	s_and_saveexec_b32 s1, vcc_lo
	s_cbranch_execz .LBB0_21
; %bb.20:
	ds_load_b64 v[40:41], v77 offset:1944
	ds_load_b64 v[54:55], v77 offset:4104
	;; [unrolled: 1-line block ×3, first 2 shown]
.LBB0_21:
	s_wait_alu 0xfffe
	s_or_b32 exec_lo, exec_lo, s1
	v_add_f64_e32 v[81:82], v[60:61], v[48:49]
	v_add_f64_e32 v[83:84], v[58:59], v[46:47]
	v_add_f64_e32 v[85:86], v[20:21], v[58:59]
	v_add_f64_e64 v[38:39], v[38:39], -v[44:45]
	v_add_f64_e32 v[2:3], v[2:3], v[30:31]
	v_add_f64_e64 v[4:5], v[4:5], -v[32:33]
	v_add_f64_e64 v[32:33], v[58:59], -v[60:61]
	;; [unrolled: 1-line block ×4, first 2 shown]
	v_mul_f64_e32 v[74:75], s[12:13], v[74:75]
	v_mul_f64_e32 v[72:73], s[6:7], v[72:73]
	;; [unrolled: 1-line block ×4, first 2 shown]
	global_wb scope:SCOPE_SE
	s_wait_dscnt 0x0
	s_barrier_signal -1
	s_barrier_wait -1
	global_inv scope:SCOPE_SE
	v_fma_f64 v[30:31], v[81:82], -0.5, v[20:21]
	v_fma_f64 v[20:21], v[83:84], -0.5, v[20:21]
	v_add_f64_e32 v[60:61], v[85:86], v[60:61]
	v_add_f64_e32 v[2:3], v[2:3], v[28:29]
	v_add_f64_e64 v[28:29], v[48:49], -v[46:47]
	v_add_f64_e32 v[32:33], v[32:33], v[44:45]
	v_fma_f64 v[0:1], v[0:1], s[12:13], -v[68:69]
	v_fma_f64 v[81:82], v[38:39], s[6:7], v[30:31]
	v_fma_f64 v[83:84], v[4:5], s[8:9], v[20:21]
	v_fma_f64 v[20:21], v[4:5], s[6:7], v[20:21]
	v_fma_f64 v[30:31], v[38:39], s[8:9], v[30:31]
	v_add_f64_e32 v[44:45], v[60:61], v[48:49]
	v_add_f64_e32 v[2:3], v[2:3], v[26:27]
	;; [unrolled: 1-line block ×3, first 2 shown]
	v_fma_f64 v[58:59], v[62:63], s[6:7], -v[70:71]
	v_fma_f64 v[28:29], v[4:5], s[12:13], v[81:82]
	v_fma_f64 v[48:49], v[38:39], s[12:13], v[83:84]
	;; [unrolled: 1-line block ×5, first 2 shown]
	v_add_f64_e32 v[44:45], v[44:45], v[46:47]
	v_add_f64_e32 v[2:3], v[2:3], v[6:7]
	v_fma_f64 v[38:39], v[66:67], s[16:17], v[72:73]
	v_fma_f64 v[6:7], v[32:33], s[16:17], v[28:29]
	;; [unrolled: 1-line block ×5, first 2 shown]
	v_add_f64_e32 v[26:27], v[44:45], v[2:3]
	v_add_f64_e64 v[2:3], v[44:45], -v[2:3]
	v_add_f64_e32 v[32:33], v[6:7], v[30:31]
	v_add_f64_e32 v[44:45], v[28:29], v[38:39]
	;; [unrolled: 1-line block ×4, first 2 shown]
	v_add_f64_e64 v[6:7], v[6:7], -v[30:31]
	v_add_f64_e64 v[28:29], v[28:29], -v[38:39]
	;; [unrolled: 1-line block ×4, first 2 shown]
	v_add_nc_u32_e32 v30, 0x1000, v77
	v_add_nc_u32_e32 v58, 0x800, v77
	ds_store_2addr_b64 v80, v[26:27], v[32:33] offset1:3
	ds_store_2addr_b64 v80, v[44:45], v[46:47] offset0:6 offset1:9
	ds_store_2addr_b64 v80, v[48:49], v[2:3] offset0:12 offset1:15
	ds_store_2addr_b64 v80, v[6:7], v[28:29] offset0:18 offset1:21
	ds_store_2addr_b64 v80, v[20:21], v[38:39] offset0:24 offset1:27
	global_wb scope:SCOPE_SE
	s_wait_dscnt 0x0
	s_barrier_signal -1
	s_barrier_wait -1
	global_inv scope:SCOPE_SE
	ds_load_2addr_b64 v[4:7], v77 offset1:81
	ds_load_2addr_b64 v[0:3], v78 offset0:34 offset1:142
	ds_load_2addr_b64 v[30:33], v30 offset0:28 offset1:109
	ds_load_2addr_b64 v[26:29], v58 offset0:95 offset1:176
	ds_load_b64 v[20:21], v77 offset:5616
	s_and_saveexec_b32 s1, vcc_lo
	s_cbranch_execz .LBB0_23
; %bb.22:
	ds_load_b64 v[38:39], v77 offset:1944
	ds_load_b64 v[36:37], v77 offset:4104
	;; [unrolled: 1-line block ×3, first 2 shown]
.LBB0_23:
	s_wait_alu 0xfffe
	s_or_b32 exec_lo, exec_lo, s1
	v_add_nc_u32_e32 v75, 0x51, v76
	v_add_nc_u32_e32 v78, 0xa2, v76
	;; [unrolled: 1-line block ×3, first 2 shown]
	v_mul_lo_u16 v45, 0x89, v79
	s_mov_b32 s6, 0xe8584caa
	v_and_b32_e32 v44, 0xff, v75
	v_and_b32_e32 v80, 0xff, v78
	;; [unrolled: 1-line block ×3, first 2 shown]
	v_lshrrev_b16 v111, 12, v45
	s_mov_b32 s7, 0x3febb67a
	v_mul_lo_u16 v44, 0x89, v44
	v_mul_lo_u16 v46, 0x89, v80
	s_mov_b32 s9, 0xbfebb67a
	v_mul_lo_u16 v45, v111, 30
	s_wait_alu 0xfffe
	s_mov_b32 s8, s6
	v_lshrrev_b16 v112, 12, v44
	v_mul_u32_u24_e32 v44, 0x8889, v79
	v_lshrrev_b16 v113, 12, v46
	v_sub_nc_u16 v45, v76, v45
	s_delay_alu instid0(VALU_DEP_4) | instskip(NEXT) | instid1(VALU_DEP_4)
	v_mul_lo_u16 v46, v112, 30
	v_lshrrev_b32_e32 v44, 20, v44
	s_delay_alu instid0(VALU_DEP_4) | instskip(NEXT) | instid1(VALU_DEP_4)
	v_mul_lo_u16 v47, v113, 30
	v_and_b32_e32 v114, 0xff, v45
	s_delay_alu instid0(VALU_DEP_4) | instskip(NEXT) | instid1(VALU_DEP_4)
	v_sub_nc_u16 v46, v75, v46
	v_mul_lo_u16 v44, v44, 30
	s_delay_alu instid0(VALU_DEP_4) | instskip(NEXT) | instid1(VALU_DEP_4)
	v_sub_nc_u16 v47, v78, v47
	v_lshlrev_b32_e32 v45, 5, v114
	s_delay_alu instid0(VALU_DEP_4) | instskip(NEXT) | instid1(VALU_DEP_4)
	v_and_b32_e32 v115, 0xff, v46
	v_sub_nc_u16 v44, v74, v44
	s_delay_alu instid0(VALU_DEP_4) | instskip(NEXT) | instid1(VALU_DEP_3)
	v_and_b32_e32 v116, 0xff, v47
	v_lshlrev_b32_e32 v46, 5, v115
	s_delay_alu instid0(VALU_DEP_3) | instskip(NEXT) | instid1(VALU_DEP_3)
	v_and_b32_e32 v117, 0xffff, v44
	v_lshlrev_b32_e32 v44, 5, v116
	s_clause 0x2
	global_load_b128 v[66:69], v45, s[4:5] offset:448
	global_load_b128 v[70:73], v46, s[4:5] offset:448
	;; [unrolled: 1-line block ×3, first 2 shown]
	v_lshlrev_b32_e32 v45, 5, v117
	s_clause 0x4
	global_load_b128 v[85:88], v46, s[4:5] offset:432
	global_load_b128 v[89:92], v44, s[4:5] offset:432
	;; [unrolled: 1-line block ×5, first 2 shown]
	global_wb scope:SCOPE_SE
	s_wait_loadcnt_dscnt 0x0
	s_barrier_signal -1
	s_barrier_wait -1
	global_inv scope:SCOPE_SE
	v_mul_f64_e32 v[44:45], v[30:31], v[68:69]
	v_mul_f64_e32 v[48:49], v[32:33], v[72:73]
	;; [unrolled: 1-line block ×14, first 2 shown]
	v_fma_f64 v[46:47], v[22:23], v[66:67], -v[44:45]
	v_fma_f64 v[44:45], v[24:25], v[70:71], -v[48:49]
	v_mul_f64_e32 v[22:23], v[54:55], v[99:100]
	v_fma_f64 v[62:63], v[10:11], v[81:82], -v[58:59]
	v_mul_f64_e32 v[24:25], v[56:57], v[103:104]
	v_fma_f64 v[58:59], v[16:17], v[85:86], -v[60:61]
	v_fma_f64 v[48:49], v[18:19], v[89:90], -v[64:65]
	;; [unrolled: 1-line block ×5, first 2 shown]
	v_fma_f64 v[64:65], v[2:3], v[81:82], v[83:84]
	v_fma_f64 v[2:3], v[30:31], v[66:67], v[68:69]
	;; [unrolled: 1-line block ×7, first 2 shown]
	v_add_f64_e32 v[16:17], v[62:63], v[46:47]
	v_fma_f64 v[70:71], v[34:35], v[101:102], v[24:25]
	v_add_f64_e32 v[18:19], v[58:59], v[44:45]
	v_add_f64_e32 v[24:25], v[12:13], v[62:63]
	;; [unrolled: 1-line block ×6, first 2 shown]
	v_add_f64_e64 v[26:27], v[64:65], -v[2:3]
	v_add_f64_e32 v[28:29], v[14:15], v[58:59]
	v_fma_f64 v[12:13], v[16:17], -0.5, v[12:13]
	v_add_f64_e64 v[16:17], v[66:67], -v[10:11]
	v_fma_f64 v[14:15], v[18:19], -0.5, v[14:15]
	v_add_f64_e64 v[18:19], v[68:69], -v[56:57]
	;; [unrolled: 2-line block ×3, first 2 shown]
	v_fma_f64 v[22:23], v[22:23], -0.5, v[40:41]
	v_add_f64_e32 v[24:25], v[24:25], v[46:47]
	v_add_f64_e32 v[32:33], v[32:33], v[54:55]
	;; [unrolled: 1-line block ×4, first 2 shown]
	v_fma_f64 v[40:41], v[26:27], s[6:7], v[12:13]
	s_wait_alu 0xfffe
	v_fma_f64 v[26:27], v[26:27], s[8:9], v[12:13]
	v_fma_f64 v[81:82], v[16:17], s[6:7], v[14:15]
	;; [unrolled: 1-line block ×7, first 2 shown]
	v_and_b32_e32 v8, 0xffff, v111
	v_and_b32_e32 v9, 0xffff, v112
	;; [unrolled: 1-line block ×3, first 2 shown]
	v_lshlrev_b32_e32 v13, 3, v114
	s_delay_alu instid0(VALU_DEP_4) | instskip(NEXT) | instid1(VALU_DEP_4)
	v_mul_u32_u24_e32 v8, 0x2d0, v8
	v_mul_u32_u24_e32 v20, 0x2d0, v9
	s_delay_alu instid0(VALU_DEP_4) | instskip(SKIP_1) | instid1(VALU_DEP_4)
	v_mul_u32_u24_e32 v21, 0x2d0, v12
	v_lshlrev_b32_e32 v12, 3, v115
	v_add3_u32 v9, 0, v8, v13
	v_lshlrev_b32_e32 v13, 3, v116
	v_lshl_add_u32 v8, v117, 3, 0
	s_delay_alu instid0(VALU_DEP_4) | instskip(NEXT) | instid1(VALU_DEP_3)
	v_add3_u32 v12, 0, v20, v12
	v_add3_u32 v13, 0, v21, v13
	ds_store_2addr_b64 v9, v[24:25], v[40:41] offset1:30
	ds_store_b64 v9, v[26:27] offset:480
	ds_store_2addr_b64 v12, v[28:29], v[81:82] offset1:30
	ds_store_b64 v12, v[14:15] offset:480
	;; [unrolled: 2-line block ×3, first 2 shown]
	s_and_saveexec_b32 s1, vcc_lo
	s_cbranch_execz .LBB0_25
; %bb.24:
	v_add_nc_u32_e32 v14, 0x1000, v8
	ds_store_2addr_b64 v14, v[32:33], v[34:35] offset0:208 offset1:238
	ds_store_b64 v8, v[36:37] offset:6240
.LBB0_25:
	s_wait_alu 0xfffe
	s_or_b32 exec_lo, exec_lo, s1
	v_add_nc_u32_e32 v14, 0x400, v77
	v_add_nc_u32_e32 v15, 0x1000, v77
	;; [unrolled: 1-line block ×3, first 2 shown]
	global_wb scope:SCOPE_SE
	s_wait_dscnt 0x0
	s_barrier_signal -1
	s_barrier_wait -1
	global_inv scope:SCOPE_SE
	ds_load_2addr_b64 v[20:23], v77 offset1:81
	ds_load_2addr_b64 v[16:19], v14 offset0:34 offset1:142
	ds_load_2addr_b64 v[28:31], v15 offset0:28 offset1:109
	;; [unrolled: 1-line block ×3, first 2 shown]
	ds_load_b64 v[40:41], v77 offset:5616
	s_and_saveexec_b32 s1, vcc_lo
	s_cbranch_execz .LBB0_27
; %bb.26:
	ds_load_b64 v[32:33], v77 offset:1944
	ds_load_b64 v[34:35], v77 offset:4104
	;; [unrolled: 1-line block ×3, first 2 shown]
.LBB0_27:
	s_wait_alu 0xfffe
	s_or_b32 exec_lo, exec_lo, s1
	v_add_f64_e32 v[14:15], v[64:65], v[2:3]
	v_add_f64_e32 v[81:82], v[66:67], v[10:11]
	;; [unrolled: 1-line block ×5, first 2 shown]
	v_add_f64_e64 v[46:47], v[62:63], -v[46:47]
	v_add_f64_e32 v[62:63], v[6:7], v[66:67]
	v_add_f64_e32 v[66:67], v[0:1], v[68:69]
	;; [unrolled: 1-line block ×3, first 2 shown]
	v_add_f64_e64 v[42:43], v[42:43], -v[54:55]
	s_mov_b32 s6, 0xe8584caa
	s_mov_b32 s7, 0xbfebb67a
	;; [unrolled: 1-line block ×3, first 2 shown]
	s_wait_alu 0xfffe
	s_mov_b32 s8, s6
	global_wb scope:SCOPE_SE
	s_wait_dscnt 0x0
	s_barrier_signal -1
	s_barrier_wait -1
	global_inv scope:SCOPE_SE
	v_fma_f64 v[4:5], v[14:15], -0.5, v[4:5]
	v_add_f64_e64 v[14:15], v[58:59], -v[44:45]
	v_fma_f64 v[6:7], v[81:82], -0.5, v[6:7]
	v_add_f64_e64 v[44:45], v[48:49], -v[60:61]
	v_fma_f64 v[0:1], v[83:84], -0.5, v[0:1]
	v_fma_f64 v[48:49], v[85:86], -0.5, v[38:39]
	v_add_f64_e32 v[2:3], v[64:65], v[2:3]
	v_add_f64_e32 v[54:55], v[66:67], v[56:57]
	;; [unrolled: 1-line block ×4, first 2 shown]
	v_fma_f64 v[56:57], v[46:47], s[6:7], v[4:5]
	s_wait_alu 0xfffe
	v_fma_f64 v[4:5], v[46:47], s[8:9], v[4:5]
	v_fma_f64 v[46:47], v[14:15], s[6:7], v[6:7]
	;; [unrolled: 1-line block ×7, first 2 shown]
	ds_store_2addr_b64 v9, v[2:3], v[56:57] offset1:30
	ds_store_b64 v9, v[4:5] offset:480
	ds_store_2addr_b64 v12, v[10:11], v[46:47] offset1:30
	ds_store_b64 v12, v[6:7] offset:480
	ds_store_2addr_b64 v13, v[54:55], v[14:15] offset1:30
	ds_store_b64 v13, v[0:1] offset:480
	s_and_saveexec_b32 s1, vcc_lo
	s_cbranch_execz .LBB0_29
; %bb.28:
	v_add_nc_u32_e32 v0, 0x1000, v8
	ds_store_2addr_b64 v0, v[38:39], v[44:45] offset0:208 offset1:238
	ds_store_b64 v8, v[42:43] offset:6240
.LBB0_29:
	s_wait_alu 0xfffe
	s_or_b32 exec_lo, exec_lo, s1
	v_add_nc_u32_e32 v0, 0x400, v77
	v_add_nc_u32_e32 v1, 0x1000, v77
	v_add_nc_u32_e32 v2, 0x800, v77
	global_wb scope:SCOPE_SE
	s_wait_dscnt 0x0
	s_barrier_signal -1
	s_barrier_wait -1
	global_inv scope:SCOPE_SE
	ds_load_2addr_b64 v[12:15], v77 offset1:81
	ds_load_2addr_b64 v[8:11], v0 offset0:34 offset1:142
	ds_load_2addr_b64 v[4:7], v1 offset0:28 offset1:109
	;; [unrolled: 1-line block ×3, first 2 shown]
	ds_load_b64 v[48:49], v77 offset:5616
	s_and_saveexec_b32 s1, vcc_lo
	s_cbranch_execz .LBB0_31
; %bb.30:
	ds_load_b64 v[38:39], v77 offset:1944
	ds_load_b64 v[44:45], v77 offset:4104
	;; [unrolled: 1-line block ×3, first 2 shown]
.LBB0_31:
	s_wait_alu 0xfffe
	s_or_b32 exec_lo, exec_lo, s1
	v_add_nc_u32_e32 v54, -9, v76
	v_mul_lo_u16 v55, 0xb7, v80
	v_cmp_gt_u32_e64 s1, 9, v76
	v_mul_u32_u24_e32 v56, 0x2d83, v79
	v_dual_mov_b32 v47, 0 :: v_dual_lshlrev_b32 v46, 1, v76
	s_delay_alu instid0(VALU_DEP_4)
	v_lshrrev_b16 v112, 14, v55
	s_wait_alu 0xf1ff
	v_cndmask_b32_e64 v111, v54, v75, s1
	v_lshrrev_b32_e32 v56, 20, v56
	s_mov_b32 s6, 0xe8584caa
	v_lshlrev_b64_e32 v[54:55], 4, v[46:47]
	v_mul_lo_u16 v58, 0x5a, v112
	v_lshlrev_b32_e32 v46, 1, v111
	v_mul_lo_u16 v59, 0x5a, v56
	s_mov_b32 s7, 0x3febb67a
	s_mov_b32 s9, 0xbfebb67a
	v_sub_nc_u16 v58, v78, v58
	v_lshlrev_b64_e32 v[56:57], 4, v[46:47]
	v_sub_nc_u16 v59, v74, v59
	v_add_co_u32 v46, s1, s4, v54
	s_wait_alu 0xf1ff
	v_add_co_ci_u32_e64 v47, s1, s5, v55, s1
	v_and_b32_e32 v113, 0xff, v58
	v_add_co_u32 v54, s1, s4, v56
	v_and_b32_e32 v114, 0xffff, v59
	s_wait_alu 0xf1ff
	v_add_co_ci_u32_e64 v55, s1, s5, v57, s1
	v_lshlrev_b32_e32 v56, 5, v113
	s_clause 0x1
	global_load_b128 v[62:65], v[46:47], off offset:1408
	global_load_b128 v[66:69], v[46:47], off offset:1392
	v_lshlrev_b32_e32 v57, 5, v114
	s_clause 0x5
	global_load_b128 v[70:73], v[54:55], off offset:1408
	global_load_b128 v[79:82], v[54:55], off offset:1392
	global_load_b128 v[83:86], v56, s[4:5] offset:1392
	global_load_b128 v[87:90], v56, s[4:5] offset:1408
	;; [unrolled: 1-line block ×4, first 2 shown]
	s_wait_alu 0xfffe
	s_mov_b32 s8, s6
	v_cmp_lt_u32_e64 s1, 8, v76
	global_wb scope:SCOPE_SE
	s_wait_loadcnt_dscnt 0x0
	s_barrier_signal -1
	s_barrier_wait -1
	global_inv scope:SCOPE_SE
	v_mul_f64_e32 v[58:59], v[6:7], v[72:73]
	v_mul_f64_e32 v[99:100], v[0:1], v[81:82]
	;; [unrolled: 1-line block ×15, first 2 shown]
	v_fma_f64 v[60:61], v[28:29], v[62:63], -v[56:57]
	v_fma_f64 v[54:55], v[18:19], v[66:67], -v[54:55]
	;; [unrolled: 1-line block ×3, first 2 shown]
	v_mul_f64_e32 v[18:19], v[36:37], v[97:98]
	v_fma_f64 v[30:31], v[26:27], v[83:84], -v[101:102]
	v_fma_f64 v[58:59], v[40:41], v[87:88], -v[103:104]
	;; [unrolled: 1-line block ×5, first 2 shown]
	v_fma_f64 v[64:65], v[10:11], v[66:67], v[68:69]
	v_fma_f64 v[10:11], v[4:5], v[62:63], v[109:110]
	;; [unrolled: 1-line block ×7, first 2 shown]
	v_add_f64_e32 v[0:1], v[54:55], v[60:61]
	v_fma_f64 v[42:43], v[42:43], v[95:96], v[18:19]
	v_add_f64_e32 v[18:19], v[20:21], v[54:55]
	v_add_f64_e32 v[4:5], v[30:31], v[58:59]
	v_add_f64_e32 v[48:49], v[16:17], v[30:31]
	v_add_f64_e32 v[6:7], v[26:27], v[40:41]
	v_add_f64_e32 v[2:3], v[56:57], v[28:29]
	v_add_f64_e32 v[36:37], v[22:23], v[56:57]
	v_add_f64_e64 v[34:35], v[64:65], -v[10:11]
	v_add_f64_e32 v[70:71], v[32:33], v[26:27]
	v_fma_f64 v[0:1], v[0:1], -0.5, v[20:21]
	v_add_f64_e64 v[20:21], v[66:67], -v[24:25]
	v_add_f64_e32 v[18:19], v[18:19], v[60:61]
	v_fma_f64 v[4:5], v[4:5], -0.5, v[16:17]
	v_add_f64_e64 v[16:17], v[44:45], -v[42:43]
	v_fma_f64 v[6:7], v[6:7], -0.5, v[32:33]
	v_fma_f64 v[2:3], v[2:3], -0.5, v[22:23]
	v_add_f64_e64 v[22:23], v[68:69], -v[62:63]
	v_add_f64_e32 v[79:80], v[36:37], v[28:29]
	v_add_f64_e32 v[32:33], v[70:71], v[40:41]
	;; [unrolled: 1-line block ×3, first 2 shown]
	v_lshl_add_u32 v70, v114, 3, 0
	v_fma_f64 v[81:82], v[34:35], s[6:7], v[0:1]
	s_wait_alu 0xfffe
	v_fma_f64 v[0:1], v[34:35], s[8:9], v[0:1]
	v_fma_f64 v[34:35], v[16:17], s[6:7], v[6:7]
	v_fma_f64 v[36:37], v[16:17], s[8:9], v[6:7]
	v_fma_f64 v[83:84], v[20:21], s[6:7], v[2:3]
	v_fma_f64 v[2:3], v[20:21], s[8:9], v[2:3]
	v_fma_f64 v[20:21], v[22:23], s[6:7], v[4:5]
	v_fma_f64 v[4:5], v[22:23], s[8:9], v[4:5]
	s_wait_alu 0xf1ff
	v_cndmask_b32_e64 v6, 0, 0x870, s1
	v_lshlrev_b32_e32 v7, 3, v111
	v_and_b32_e32 v16, 0xffff, v112
	s_delay_alu instid0(VALU_DEP_2) | instskip(NEXT) | instid1(VALU_DEP_2)
	v_add3_u32 v71, 0, v6, v7
	v_mul_u32_u24_e32 v6, 0x870, v16
	v_lshlrev_b32_e32 v7, 3, v113
	s_delay_alu instid0(VALU_DEP_1)
	v_add3_u32 v72, 0, v6, v7
	ds_store_2addr_b64 v77, v[18:19], v[81:82] offset1:90
	ds_store_b64 v77, v[0:1] offset:1440
	ds_store_2addr_b64 v71, v[79:80], v[83:84] offset1:90
	ds_store_b64 v71, v[2:3] offset:1440
	;; [unrolled: 2-line block ×3, first 2 shown]
	s_and_saveexec_b32 s1, vcc_lo
	s_cbranch_execz .LBB0_33
; %bb.32:
	v_add_nc_u32_e32 v0, 0x1000, v70
	ds_store_2addr_b64 v0, v[32:33], v[34:35] offset0:28 offset1:118
	ds_store_b64 v70, v[36:37] offset:5760
.LBB0_33:
	s_wait_alu 0xfffe
	s_or_b32 exec_lo, exec_lo, s1
	v_add_nc_u32_e32 v0, 0x400, v77
	v_add_nc_u32_e32 v16, 0x1000, v77
	;; [unrolled: 1-line block ×3, first 2 shown]
	global_wb scope:SCOPE_SE
	s_wait_dscnt 0x0
	s_barrier_signal -1
	s_barrier_wait -1
	global_inv scope:SCOPE_SE
	ds_load_2addr_b64 v[4:7], v77 offset1:81
	ds_load_2addr_b64 v[0:3], v0 offset0:34 offset1:142
	ds_load_2addr_b64 v[20:23], v16 offset0:28 offset1:109
	;; [unrolled: 1-line block ×3, first 2 shown]
	ds_load_b64 v[48:49], v77 offset:5616
	s_and_saveexec_b32 s1, vcc_lo
	s_cbranch_execz .LBB0_35
; %bb.34:
	ds_load_b64 v[32:33], v77 offset:1944
	ds_load_b64 v[34:35], v77 offset:4104
	;; [unrolled: 1-line block ×3, first 2 shown]
.LBB0_35:
	s_wait_alu 0xfffe
	s_or_b32 exec_lo, exec_lo, s1
	v_add_f64_e32 v[79:80], v[64:65], v[10:11]
	v_add_f64_e32 v[85:86], v[44:45], v[42:43]
	;; [unrolled: 1-line block ×5, first 2 shown]
	v_add_f64_e64 v[54:55], v[54:55], -v[60:61]
	v_add_f64_e32 v[44:45], v[38:39], v[44:45]
	v_add_f64_e64 v[28:29], v[56:57], -v[28:29]
	v_add_f64_e64 v[26:27], v[26:27], -v[40:41]
	v_add_f64_e32 v[60:61], v[14:15], v[66:67]
	v_add_f64_e32 v[66:67], v[8:9], v[68:69]
	v_add_f64_e64 v[30:31], v[30:31], -v[58:59]
	s_mov_b32 s6, 0xe8584caa
	s_mov_b32 s7, 0xbfebb67a
	;; [unrolled: 1-line block ×3, first 2 shown]
	s_wait_alu 0xfffe
	s_mov_b32 s8, s6
	global_wb scope:SCOPE_SE
	s_wait_dscnt 0x0
	s_barrier_signal -1
	s_barrier_wait -1
	global_inv scope:SCOPE_SE
	v_fma_f64 v[12:13], v[79:80], -0.5, v[12:13]
	v_fma_f64 v[56:57], v[85:86], -0.5, v[38:39]
	;; [unrolled: 1-line block ×4, first 2 shown]
	v_add_f64_e32 v[10:11], v[64:65], v[10:11]
	v_add_f64_e32 v[38:39], v[44:45], v[42:43]
	;; [unrolled: 1-line block ×4, first 2 shown]
	v_fma_f64 v[42:43], v[54:55], s[6:7], v[12:13]
	v_fma_f64 v[40:41], v[26:27], s[6:7], v[56:57]
	s_wait_alu 0xfffe
	v_fma_f64 v[44:45], v[26:27], s[8:9], v[56:57]
	v_fma_f64 v[12:13], v[54:55], s[8:9], v[12:13]
	;; [unrolled: 1-line block ×6, first 2 shown]
	ds_store_2addr_b64 v77, v[10:11], v[42:43] offset1:90
	ds_store_b64 v77, v[12:13] offset:1440
	ds_store_2addr_b64 v71, v[24:25], v[54:55] offset1:90
	ds_store_b64 v71, v[14:15] offset:1440
	;; [unrolled: 2-line block ×3, first 2 shown]
	s_and_saveexec_b32 s1, vcc_lo
	s_cbranch_execz .LBB0_37
; %bb.36:
	v_add_nc_u32_e32 v8, 0x1000, v70
	ds_store_2addr_b64 v8, v[38:39], v[40:41] offset0:28 offset1:118
	ds_store_b64 v70, v[44:45] offset:5760
.LBB0_37:
	s_wait_alu 0xfffe
	s_or_b32 exec_lo, exec_lo, s1
	v_add_nc_u32_e32 v12, 0x400, v77
	v_add_nc_u32_e32 v24, 0x1000, v77
	;; [unrolled: 1-line block ×3, first 2 shown]
	global_wb scope:SCOPE_SE
	s_wait_dscnt 0x0
	s_barrier_signal -1
	s_barrier_wait -1
	global_inv scope:SCOPE_SE
	ds_load_2addr_b64 v[8:11], v77 offset1:81
	ds_load_2addr_b64 v[12:15], v12 offset0:34 offset1:142
	ds_load_2addr_b64 v[24:27], v24 offset0:28 offset1:109
	;; [unrolled: 1-line block ×3, first 2 shown]
	ds_load_b64 v[54:55], v77 offset:5616
	s_and_saveexec_b32 s1, vcc_lo
	s_cbranch_execz .LBB0_39
; %bb.38:
	ds_load_b64 v[38:39], v77 offset:1944
	ds_load_b64 v[40:41], v77 offset:4104
	;; [unrolled: 1-line block ×3, first 2 shown]
.LBB0_39:
	s_wait_alu 0xfffe
	s_or_b32 exec_lo, exec_lo, s1
	s_and_saveexec_b32 s1, s0
	s_cbranch_execz .LBB0_42
; %bb.40:
	v_dual_mov_b32 v43, 0 :: v_dual_lshlrev_b32 v42, 1, v78
	global_load_b128 v[56:59], v[46:47], off offset:4272
	v_add_nc_u32_e32 v95, 0xa2, v76
	v_lshlrev_b64_e32 v[50:51], 4, v[50:51]
	s_mov_b32 s7, 0xbfebb67a
	v_lshlrev_b64_e32 v[60:61], 4, v[42:43]
	v_lshlrev_b32_e32 v42, 1, v75
	v_add_nc_u32_e32 v75, 0x51, v76
	s_delay_alu instid0(VALU_DEP_2) | instskip(NEXT) | instid1(VALU_DEP_4)
	v_lshlrev_b64_e32 v[62:63], 4, v[42:43]
	v_add_co_u32 v68, s0, s4, v60
	s_wait_alu 0xf1ff
	v_add_co_ci_u32_e64 v69, s0, s5, v61, s0
	v_mul_lo_u32 v42, s2, v53
	s_delay_alu instid0(VALU_DEP_4)
	v_add_co_u32 v72, s0, s4, v62
	s_wait_alu 0xf1ff
	v_add_co_ci_u32_e64 v73, s0, s5, v63, s0
	s_clause 0x4
	global_load_b128 v[60:63], v[46:47], off offset:4288
	global_load_b128 v[64:67], v[68:69], off offset:4272
	;; [unrolled: 1-line block ×5, first 2 shown]
	s_wait_loadcnt_dscnt 0x503
	v_mul_f64_e32 v[46:47], v[14:15], v[58:59]
	v_mul_f64_e32 v[58:59], v[2:3], v[58:59]
	s_wait_loadcnt 0x4
	v_mul_f64_e32 v[72:73], v[20:21], v[62:63]
	s_wait_dscnt 0x2
	v_mul_f64_e32 v[62:63], v[24:25], v[62:63]
	s_wait_loadcnt 0x3
	v_mul_f64_e32 v[85:86], v[18:19], v[66:67]
	s_wait_loadcnt 0x1
	v_mul_f64_e32 v[89:90], v[16:17], v[79:80]
	s_wait_loadcnt 0x0
	v_mul_f64_e32 v[91:92], v[22:23], v[83:84]
	s_wait_dscnt 0x1
	v_mul_f64_e32 v[79:80], v[28:29], v[79:80]
	v_mul_f64_e32 v[83:84], v[26:27], v[83:84]
	v_mul_f64_e32 v[87:88], v[48:49], v[70:71]
	v_mul_f64_e32 v[66:67], v[30:31], v[66:67]
	s_wait_dscnt 0x0
	v_mul_f64_e32 v[70:71], v[54:55], v[70:71]
	v_fma_f64 v[46:47], v[2:3], v[56:57], -v[46:47]
	v_fma_f64 v[14:15], v[14:15], v[56:57], v[58:59]
	v_mul_lo_u32 v3, s3, v52
	v_mad_co_u64_u32 v[52:53], null, s2, v52, 0
	s_mov_b32 s2, 0xe8584caa
	s_mov_b32 s3, 0x3febb67a
	s_wait_alu 0xfffe
	s_mov_b32 s6, s2
	v_add_nc_u32_e32 v2, 0xf3, v76
	s_delay_alu instid0(VALU_DEP_2) | instskip(NEXT) | instid1(VALU_DEP_2)
	v_add3_u32 v53, v53, v42, v3
	v_cmp_gt_u32_e64 s0, 0x10e, v2
	v_fma_f64 v[24:25], v[24:25], v[60:61], v[72:73]
	v_fma_f64 v[20:21], v[20:21], v[60:61], -v[62:63]
	v_fma_f64 v[30:31], v[30:31], v[64:65], v[85:86]
	v_fma_f64 v[28:29], v[28:29], v[77:78], v[89:90]
	;; [unrolled: 1-line block ×3, first 2 shown]
	v_fma_f64 v[16:17], v[16:17], v[77:78], -v[79:80]
	v_fma_f64 v[22:23], v[22:23], v[81:82], -v[83:84]
	v_fma_f64 v[54:55], v[54:55], v[68:69], v[87:88]
	v_fma_f64 v[18:19], v[18:19], v[64:65], -v[66:67]
	v_fma_f64 v[48:49], v[48:49], v[68:69], -v[70:71]
	v_mul_hi_u32 v68, 0xf2b9d649, v76
	v_mul_hi_u32 v71, 0xf2b9d649, v95
	v_lshlrev_b64_e32 v[52:53], 4, v[52:53]
	v_mov_b32_e32 v69, v43
	s_delay_alu instid0(VALU_DEP_4) | instskip(SKIP_3) | instid1(VALU_DEP_4)
	v_lshrrev_b32_e32 v72, 8, v68
	v_mov_b32_e32 v68, v43
	v_mul_hi_u32 v70, 0xf2b9d649, v75
	v_lshrrev_b32_e32 v101, 8, v71
	v_mul_u32_u24_e32 v3, 0x10e, v72
	v_add_f64_e32 v[72:73], v[8:9], v[14:15]
	s_delay_alu instid0(VALU_DEP_3) | instskip(SKIP_1) | instid1(VALU_DEP_4)
	v_mul_u32_u24_e32 v96, 0x10e, v101
	v_lshrrev_b32_e32 v42, 8, v70
	v_sub_nc_u32_e32 v3, v76, v3
	s_delay_alu instid0(VALU_DEP_2) | instskip(NEXT) | instid1(VALU_DEP_2)
	v_mul_u32_u24_e32 v91, 0x10e, v42
	v_lshlrev_b32_e32 v3, 4, v3
	v_add_f64_e32 v[56:57], v[14:15], v[24:25]
	v_add_f64_e32 v[58:59], v[46:47], v[20:21]
	v_add_f64_e64 v[77:78], v[14:15], -v[24:25]
	v_add_f64_e32 v[14:15], v[4:5], v[46:47]
	v_add_f64_e32 v[62:63], v[28:29], v[26:27]
	v_add_f64_e64 v[70:71], v[46:47], -v[20:21]
	v_add_f64_e32 v[64:65], v[16:17], v[22:23]
	v_add_f64_e32 v[60:61], v[30:31], v[54:55]
	;; [unrolled: 1-line block ×7, first 2 shown]
	v_add_f64_e64 v[87:88], v[16:17], -v[22:23]
	v_add_f64_e64 v[89:90], v[28:29], -v[26:27]
	;; [unrolled: 1-line block ×3, first 2 shown]
	v_fma_f64 v[56:57], v[56:57], -0.5, v[8:9]
	v_fma_f64 v[58:59], v[58:59], -0.5, v[4:5]
	v_sub_nc_u32_e32 v4, v75, v91
	v_add_f64_e64 v[91:92], v[30:31], -v[54:55]
	v_fma_f64 v[62:63], v[62:63], -0.5, v[10:11]
	v_sub_nc_u32_e32 v5, v95, v96
	v_fma_f64 v[64:65], v[64:65], -0.5, v[6:7]
	v_fma_f64 v[60:61], v[60:61], -0.5, v[12:13]
	v_mad_u32_u24 v42, 0x32a, v42, v4
	v_fma_f64 v[93:94], v[66:67], -0.5, v[0:1]
	v_add_co_u32 v0, s1, s10, v52
	s_wait_alu 0xf1ff
	v_add_co_ci_u32_e64 v1, s1, s11, v53, s1
	v_lshlrev_b64_e32 v[95:96], 4, v[42:43]
	s_delay_alu instid0(VALU_DEP_3)
	v_add_co_u32 v0, s1, v0, v50
	v_add_nc_u32_e32 v67, 0x10e, v42
	v_add_nc_u32_e32 v42, 0x21c, v42
	s_wait_alu 0xf1ff
	v_add_co_ci_u32_e64 v1, s1, v1, v51, s1
	v_add_co_u32 v97, s1, v0, v3
	s_delay_alu instid0(VALU_DEP_3)
	v_lshlrev_b64_e32 v[99:100], 4, v[42:43]
	v_mad_u32_u24 v42, 0x32a, v101, v5
	v_add_f64_e32 v[5:6], v[72:73], v[24:25]
	v_add_f64_e32 v[3:4], v[14:15], v[20:21]
	;; [unrolled: 1-line block ×6, first 2 shown]
	v_lshlrev_b64_e32 v[66:67], 4, v[67:68]
	s_wait_alu 0xf1ff
	v_add_co_ci_u32_e64 v98, s1, 0, v1, s1
	v_add_co_u32 v54, s1, v0, v95
	v_add_nc_u32_e32 v68, 0x10e, v42
	s_wait_alu 0xf1ff
	v_add_co_ci_u32_e64 v55, s1, v1, v96, s1
	s_wait_alu 0xfffe
	v_fma_f64 v[21:22], v[70:71], s[6:7], v[56:57]
	v_fma_f64 v[19:20], v[77:78], s[2:3], v[58:59]
	;; [unrolled: 1-line block ×12, first 2 shown]
	v_lshlrev_b64_e32 v[56:57], 4, v[42:43]
	v_add_co_u32 v58, s1, v0, v66
	v_add_nc_u32_e32 v42, 0x21c, v42
	s_wait_alu 0xf1ff
	v_add_co_ci_u32_e64 v59, s1, v1, v67, s1
	v_add_co_u32 v60, s1, v0, v99
	v_lshlrev_b64_e32 v[62:63], 4, v[68:69]
	s_wait_alu 0xf1ff
	v_add_co_ci_u32_e64 v61, s1, v1, v100, s1
	v_lshlrev_b64_e32 v[64:65], 4, v[42:43]
	v_add_co_u32 v56, s1, v0, v56
	s_wait_alu 0xf1ff
	v_add_co_ci_u32_e64 v57, s1, v1, v57, s1
	v_add_co_u32 v62, s1, v0, v62
	s_wait_alu 0xf1ff
	v_add_co_ci_u32_e64 v63, s1, v1, v63, s1
	;; [unrolled: 3-line block ×3, first 2 shown]
	s_clause 0x8
	global_store_b128 v[97:98], v[3:6], off
	global_store_b128 v[97:98], v[19:22], off offset:4320
	global_store_b128 v[97:98], v[15:18], off offset:8640
	global_store_b128 v[54:55], v[11:14], off
	global_store_b128 v[58:59], v[46:49], off
	;; [unrolled: 1-line block ×6, first 2 shown]
	s_and_b32 exec_lo, exec_lo, s0
	s_cbranch_execz .LBB0_42
; %bb.41:
	v_subrev_nc_u32_e32 v3, 27, v76
	s_delay_alu instid0(VALU_DEP_1) | instskip(NEXT) | instid1(VALU_DEP_1)
	v_cndmask_b32_e32 v3, v3, v74, vcc_lo
	v_lshlrev_b32_e32 v42, 1, v3
	s_delay_alu instid0(VALU_DEP_1) | instskip(SKIP_1) | instid1(VALU_DEP_2)
	v_lshlrev_b64_e32 v[3:4], 4, v[42:43]
	v_add_nc_u32_e32 v42, 0x201, v76
	v_add_co_u32 v7, vcc_lo, s4, v3
	s_wait_alu 0xfffd
	s_delay_alu instid0(VALU_DEP_3)
	v_add_co_ci_u32_e32 v8, vcc_lo, s5, v4, vcc_lo
	s_clause 0x1
	global_load_b128 v[3:6], v[7:8], off offset:4272
	global_load_b128 v[7:10], v[7:8], off offset:4288
	s_wait_loadcnt 0x1
	v_mul_f64_e32 v[11:12], v[40:41], v[5:6]
	s_wait_loadcnt 0x0
	v_mul_f64_e32 v[13:14], v[44:45], v[9:10]
	v_mul_f64_e32 v[5:6], v[34:35], v[5:6]
	;; [unrolled: 1-line block ×3, first 2 shown]
	s_delay_alu instid0(VALU_DEP_4) | instskip(NEXT) | instid1(VALU_DEP_4)
	v_fma_f64 v[11:12], v[34:35], v[3:4], -v[11:12]
	v_fma_f64 v[13:14], v[36:37], v[7:8], -v[13:14]
	s_delay_alu instid0(VALU_DEP_4) | instskip(NEXT) | instid1(VALU_DEP_4)
	v_fma_f64 v[3:4], v[40:41], v[3:4], v[5:6]
	v_fma_f64 v[6:7], v[44:45], v[7:8], v[9:10]
	s_delay_alu instid0(VALU_DEP_4) | instskip(NEXT) | instid1(VALU_DEP_4)
	v_add_f64_e32 v[17:18], v[32:33], v[11:12]
	v_add_f64_e32 v[8:9], v[11:12], v[13:14]
	s_delay_alu instid0(VALU_DEP_4) | instskip(NEXT) | instid1(VALU_DEP_4)
	v_add_f64_e32 v[21:22], v[38:39], v[3:4]
	v_add_f64_e32 v[15:16], v[3:4], v[6:7]
	v_add_f64_e64 v[19:20], v[3:4], -v[6:7]
	v_mov_b32_e32 v3, v43
	v_add_f64_e64 v[25:26], v[11:12], -v[13:14]
	s_delay_alu instid0(VALU_DEP_2) | instskip(NEXT) | instid1(VALU_DEP_1)
	v_lshlrev_b64_e32 v[2:3], 4, v[2:3]
	v_add_co_u32 v2, vcc_lo, v0, v2
	s_wait_alu 0xfffd
	s_delay_alu instid0(VALU_DEP_2) | instskip(SKIP_4) | instid1(VALU_DEP_3)
	v_add_co_ci_u32_e32 v3, vcc_lo, v1, v3, vcc_lo
	v_add_f64_e32 v[4:5], v[17:18], v[13:14]
	v_fma_f64 v[23:24], v[8:9], -0.5, v[32:33]
	v_add_f64_e32 v[6:7], v[21:22], v[6:7]
	v_fma_f64 v[15:16], v[15:16], -0.5, v[38:39]
	v_fma_f64 v[8:9], v[19:20], s[2:3], v[23:24]
	v_fma_f64 v[12:13], v[19:20], s[6:7], v[23:24]
	s_delay_alu instid0(VALU_DEP_3) | instskip(SKIP_3) | instid1(VALU_DEP_1)
	v_fma_f64 v[10:11], v[25:26], s[6:7], v[15:16]
	v_fma_f64 v[14:15], v[25:26], s[2:3], v[15:16]
	v_lshlrev_b64_e32 v[16:17], 4, v[42:43]
	v_add_nc_u32_e32 v42, 0x30f, v76
	v_lshlrev_b64_e32 v[18:19], 4, v[42:43]
	s_delay_alu instid0(VALU_DEP_3) | instskip(SKIP_1) | instid1(VALU_DEP_4)
	v_add_co_u32 v16, vcc_lo, v0, v16
	s_wait_alu 0xfffd
	v_add_co_ci_u32_e32 v17, vcc_lo, v1, v17, vcc_lo
	s_delay_alu instid0(VALU_DEP_3)
	v_add_co_u32 v0, vcc_lo, v0, v18
	s_wait_alu 0xfffd
	v_add_co_ci_u32_e32 v1, vcc_lo, v1, v19, vcc_lo
	s_clause 0x2
	global_store_b128 v[2:3], v[4:7], off
	global_store_b128 v[16:17], v[8:11], off
	;; [unrolled: 1-line block ×3, first 2 shown]
.LBB0_42:
	s_nop 0
	s_sendmsg sendmsg(MSG_DEALLOC_VGPRS)
	s_endpgm
	.section	.rodata,"a",@progbits
	.p2align	6, 0x0
	.amdhsa_kernel fft_rtc_fwd_len810_factors_3_10_3_3_3_wgs_81_tpt_81_halfLds_dp_op_CI_CI_unitstride_sbrr_dirReg
		.amdhsa_group_segment_fixed_size 0
		.amdhsa_private_segment_fixed_size 0
		.amdhsa_kernarg_size 104
		.amdhsa_user_sgpr_count 2
		.amdhsa_user_sgpr_dispatch_ptr 0
		.amdhsa_user_sgpr_queue_ptr 0
		.amdhsa_user_sgpr_kernarg_segment_ptr 1
		.amdhsa_user_sgpr_dispatch_id 0
		.amdhsa_user_sgpr_private_segment_size 0
		.amdhsa_wavefront_size32 1
		.amdhsa_uses_dynamic_stack 0
		.amdhsa_enable_private_segment 0
		.amdhsa_system_sgpr_workgroup_id_x 1
		.amdhsa_system_sgpr_workgroup_id_y 0
		.amdhsa_system_sgpr_workgroup_id_z 0
		.amdhsa_system_sgpr_workgroup_info 0
		.amdhsa_system_vgpr_workitem_id 0
		.amdhsa_next_free_vgpr 118
		.amdhsa_next_free_sgpr 39
		.amdhsa_reserve_vcc 1
		.amdhsa_float_round_mode_32 0
		.amdhsa_float_round_mode_16_64 0
		.amdhsa_float_denorm_mode_32 3
		.amdhsa_float_denorm_mode_16_64 3
		.amdhsa_fp16_overflow 0
		.amdhsa_workgroup_processor_mode 1
		.amdhsa_memory_ordered 1
		.amdhsa_forward_progress 0
		.amdhsa_round_robin_scheduling 0
		.amdhsa_exception_fp_ieee_invalid_op 0
		.amdhsa_exception_fp_denorm_src 0
		.amdhsa_exception_fp_ieee_div_zero 0
		.amdhsa_exception_fp_ieee_overflow 0
		.amdhsa_exception_fp_ieee_underflow 0
		.amdhsa_exception_fp_ieee_inexact 0
		.amdhsa_exception_int_div_zero 0
	.end_amdhsa_kernel
	.text
.Lfunc_end0:
	.size	fft_rtc_fwd_len810_factors_3_10_3_3_3_wgs_81_tpt_81_halfLds_dp_op_CI_CI_unitstride_sbrr_dirReg, .Lfunc_end0-fft_rtc_fwd_len810_factors_3_10_3_3_3_wgs_81_tpt_81_halfLds_dp_op_CI_CI_unitstride_sbrr_dirReg
                                        ; -- End function
	.section	.AMDGPU.csdata,"",@progbits
; Kernel info:
; codeLenInByte = 9088
; NumSgprs: 41
; NumVgprs: 118
; ScratchSize: 0
; MemoryBound: 1
; FloatMode: 240
; IeeeMode: 1
; LDSByteSize: 0 bytes/workgroup (compile time only)
; SGPRBlocks: 5
; VGPRBlocks: 14
; NumSGPRsForWavesPerEU: 41
; NumVGPRsForWavesPerEU: 118
; Occupancy: 12
; WaveLimiterHint : 1
; COMPUTE_PGM_RSRC2:SCRATCH_EN: 0
; COMPUTE_PGM_RSRC2:USER_SGPR: 2
; COMPUTE_PGM_RSRC2:TRAP_HANDLER: 0
; COMPUTE_PGM_RSRC2:TGID_X_EN: 1
; COMPUTE_PGM_RSRC2:TGID_Y_EN: 0
; COMPUTE_PGM_RSRC2:TGID_Z_EN: 0
; COMPUTE_PGM_RSRC2:TIDIG_COMP_CNT: 0
	.text
	.p2alignl 7, 3214868480
	.fill 96, 4, 3214868480
	.type	__hip_cuid_956d149ef0c02dd3,@object ; @__hip_cuid_956d149ef0c02dd3
	.section	.bss,"aw",@nobits
	.globl	__hip_cuid_956d149ef0c02dd3
__hip_cuid_956d149ef0c02dd3:
	.byte	0                               ; 0x0
	.size	__hip_cuid_956d149ef0c02dd3, 1

	.ident	"AMD clang version 19.0.0git (https://github.com/RadeonOpenCompute/llvm-project roc-6.4.0 25133 c7fe45cf4b819c5991fe208aaa96edf142730f1d)"
	.section	".note.GNU-stack","",@progbits
	.addrsig
	.addrsig_sym __hip_cuid_956d149ef0c02dd3
	.amdgpu_metadata
---
amdhsa.kernels:
  - .args:
      - .actual_access:  read_only
        .address_space:  global
        .offset:         0
        .size:           8
        .value_kind:     global_buffer
      - .offset:         8
        .size:           8
        .value_kind:     by_value
      - .actual_access:  read_only
        .address_space:  global
        .offset:         16
        .size:           8
        .value_kind:     global_buffer
      - .actual_access:  read_only
        .address_space:  global
        .offset:         24
        .size:           8
        .value_kind:     global_buffer
      - .actual_access:  read_only
        .address_space:  global
        .offset:         32
        .size:           8
        .value_kind:     global_buffer
      - .offset:         40
        .size:           8
        .value_kind:     by_value
      - .actual_access:  read_only
        .address_space:  global
        .offset:         48
        .size:           8
        .value_kind:     global_buffer
      - .actual_access:  read_only
        .address_space:  global
        .offset:         56
        .size:           8
        .value_kind:     global_buffer
      - .offset:         64
        .size:           4
        .value_kind:     by_value
      - .actual_access:  read_only
        .address_space:  global
        .offset:         72
        .size:           8
        .value_kind:     global_buffer
      - .actual_access:  read_only
        .address_space:  global
        .offset:         80
        .size:           8
        .value_kind:     global_buffer
      - .actual_access:  read_only
        .address_space:  global
        .offset:         88
        .size:           8
        .value_kind:     global_buffer
      - .actual_access:  write_only
        .address_space:  global
        .offset:         96
        .size:           8
        .value_kind:     global_buffer
    .group_segment_fixed_size: 0
    .kernarg_segment_align: 8
    .kernarg_segment_size: 104
    .language:       OpenCL C
    .language_version:
      - 2
      - 0
    .max_flat_workgroup_size: 81
    .name:           fft_rtc_fwd_len810_factors_3_10_3_3_3_wgs_81_tpt_81_halfLds_dp_op_CI_CI_unitstride_sbrr_dirReg
    .private_segment_fixed_size: 0
    .sgpr_count:     41
    .sgpr_spill_count: 0
    .symbol:         fft_rtc_fwd_len810_factors_3_10_3_3_3_wgs_81_tpt_81_halfLds_dp_op_CI_CI_unitstride_sbrr_dirReg.kd
    .uniform_work_group_size: 1
    .uses_dynamic_stack: false
    .vgpr_count:     118
    .vgpr_spill_count: 0
    .wavefront_size: 32
    .workgroup_processor_mode: 1
amdhsa.target:   amdgcn-amd-amdhsa--gfx1201
amdhsa.version:
  - 1
  - 2
...

	.end_amdgpu_metadata
